;; amdgpu-corpus repo=ROCm/rocFFT kind=compiled arch=gfx906 opt=O3
	.text
	.amdgcn_target "amdgcn-amd-amdhsa--gfx906"
	.amdhsa_code_object_version 6
	.protected	fft_rtc_back_len1350_factors_5_10_3_3_3_wgs_135_tpt_135_halfLds_sp_ip_CI_sbrr_dirReg ; -- Begin function fft_rtc_back_len1350_factors_5_10_3_3_3_wgs_135_tpt_135_halfLds_sp_ip_CI_sbrr_dirReg
	.globl	fft_rtc_back_len1350_factors_5_10_3_3_3_wgs_135_tpt_135_halfLds_sp_ip_CI_sbrr_dirReg
	.p2align	8
	.type	fft_rtc_back_len1350_factors_5_10_3_3_3_wgs_135_tpt_135_halfLds_sp_ip_CI_sbrr_dirReg,@function
fft_rtc_back_len1350_factors_5_10_3_3_3_wgs_135_tpt_135_halfLds_sp_ip_CI_sbrr_dirReg: ; @fft_rtc_back_len1350_factors_5_10_3_3_3_wgs_135_tpt_135_halfLds_sp_ip_CI_sbrr_dirReg
; %bb.0:
	s_load_dwordx2 s[2:3], s[4:5], 0x18
	s_load_dwordx4 s[8:11], s[4:5], 0x0
	s_load_dwordx2 s[14:15], s[4:5], 0x50
	v_mul_u32_u24_e32 v1, 0x1e6, v0
	v_add_u32_sdwa v5, s6, v1 dst_sel:DWORD dst_unused:UNUSED_PAD src0_sel:DWORD src1_sel:WORD_1
	s_waitcnt lgkmcnt(0)
	s_load_dwordx2 s[12:13], s[2:3], 0x0
	v_cmp_lt_u64_e64 s[0:1], s[10:11], 2
	v_mov_b32_e32 v3, 0
	v_mov_b32_e32 v1, 0
	;; [unrolled: 1-line block ×3, first 2 shown]
	s_and_b64 vcc, exec, s[0:1]
	v_mov_b32_e32 v2, 0
	s_cbranch_vccnz .LBB0_8
; %bb.1:
	s_load_dwordx2 s[0:1], s[4:5], 0x10
	s_add_u32 s6, s2, 8
	s_addc_u32 s7, s3, 0
	v_mov_b32_e32 v1, 0
	v_mov_b32_e32 v2, 0
	s_waitcnt lgkmcnt(0)
	s_add_u32 s16, s0, 8
	s_addc_u32 s17, s1, 0
	s_mov_b64 s[18:19], 1
.LBB0_2:                                ; =>This Inner Loop Header: Depth=1
	s_load_dwordx2 s[20:21], s[16:17], 0x0
                                        ; implicit-def: $vgpr7_vgpr8
	s_waitcnt lgkmcnt(0)
	v_or_b32_e32 v4, s21, v6
	v_cmp_ne_u64_e32 vcc, 0, v[3:4]
	s_and_saveexec_b64 s[0:1], vcc
	s_xor_b64 s[22:23], exec, s[0:1]
	s_cbranch_execz .LBB0_4
; %bb.3:                                ;   in Loop: Header=BB0_2 Depth=1
	v_cvt_f32_u32_e32 v4, s20
	v_cvt_f32_u32_e32 v7, s21
	s_sub_u32 s0, 0, s20
	s_subb_u32 s1, 0, s21
	v_mac_f32_e32 v4, 0x4f800000, v7
	v_rcp_f32_e32 v4, v4
	v_mul_f32_e32 v4, 0x5f7ffffc, v4
	v_mul_f32_e32 v7, 0x2f800000, v4
	v_trunc_f32_e32 v7, v7
	v_mac_f32_e32 v4, 0xcf800000, v7
	v_cvt_u32_f32_e32 v7, v7
	v_cvt_u32_f32_e32 v4, v4
	v_mul_lo_u32 v8, s0, v7
	v_mul_hi_u32 v9, s0, v4
	v_mul_lo_u32 v11, s1, v4
	v_mul_lo_u32 v10, s0, v4
	v_add_u32_e32 v8, v9, v8
	v_add_u32_e32 v8, v8, v11
	v_mul_hi_u32 v9, v4, v10
	v_mul_lo_u32 v11, v4, v8
	v_mul_hi_u32 v13, v4, v8
	v_mul_hi_u32 v12, v7, v10
	v_mul_lo_u32 v10, v7, v10
	v_mul_hi_u32 v14, v7, v8
	v_add_co_u32_e32 v9, vcc, v9, v11
	v_addc_co_u32_e32 v11, vcc, 0, v13, vcc
	v_mul_lo_u32 v8, v7, v8
	v_add_co_u32_e32 v9, vcc, v9, v10
	v_addc_co_u32_e32 v9, vcc, v11, v12, vcc
	v_addc_co_u32_e32 v10, vcc, 0, v14, vcc
	v_add_co_u32_e32 v8, vcc, v9, v8
	v_addc_co_u32_e32 v9, vcc, 0, v10, vcc
	v_add_co_u32_e32 v4, vcc, v4, v8
	v_addc_co_u32_e32 v7, vcc, v7, v9, vcc
	v_mul_lo_u32 v8, s0, v7
	v_mul_hi_u32 v9, s0, v4
	v_mul_lo_u32 v10, s1, v4
	v_mul_lo_u32 v11, s0, v4
	v_add_u32_e32 v8, v9, v8
	v_add_u32_e32 v8, v8, v10
	v_mul_lo_u32 v12, v4, v8
	v_mul_hi_u32 v13, v4, v11
	v_mul_hi_u32 v14, v4, v8
	;; [unrolled: 1-line block ×3, first 2 shown]
	v_mul_lo_u32 v11, v7, v11
	v_mul_hi_u32 v9, v7, v8
	v_add_co_u32_e32 v12, vcc, v13, v12
	v_addc_co_u32_e32 v13, vcc, 0, v14, vcc
	v_mul_lo_u32 v8, v7, v8
	v_add_co_u32_e32 v11, vcc, v12, v11
	v_addc_co_u32_e32 v10, vcc, v13, v10, vcc
	v_addc_co_u32_e32 v9, vcc, 0, v9, vcc
	v_add_co_u32_e32 v8, vcc, v10, v8
	v_addc_co_u32_e32 v9, vcc, 0, v9, vcc
	v_add_co_u32_e32 v4, vcc, v4, v8
	v_addc_co_u32_e32 v9, vcc, v7, v9, vcc
	v_mad_u64_u32 v[7:8], s[0:1], v5, v9, 0
	v_mul_hi_u32 v10, v5, v4
	v_add_co_u32_e32 v11, vcc, v10, v7
	v_addc_co_u32_e32 v12, vcc, 0, v8, vcc
	v_mad_u64_u32 v[7:8], s[0:1], v6, v4, 0
	v_mad_u64_u32 v[9:10], s[0:1], v6, v9, 0
	v_add_co_u32_e32 v4, vcc, v11, v7
	v_addc_co_u32_e32 v4, vcc, v12, v8, vcc
	v_addc_co_u32_e32 v7, vcc, 0, v10, vcc
	v_add_co_u32_e32 v4, vcc, v4, v9
	v_addc_co_u32_e32 v9, vcc, 0, v7, vcc
	v_mul_lo_u32 v10, s21, v4
	v_mul_lo_u32 v11, s20, v9
	v_mad_u64_u32 v[7:8], s[0:1], s20, v4, 0
	v_add3_u32 v8, v8, v11, v10
	v_sub_u32_e32 v10, v6, v8
	v_mov_b32_e32 v11, s21
	v_sub_co_u32_e32 v7, vcc, v5, v7
	v_subb_co_u32_e64 v10, s[0:1], v10, v11, vcc
	v_subrev_co_u32_e64 v11, s[0:1], s20, v7
	v_subbrev_co_u32_e64 v10, s[0:1], 0, v10, s[0:1]
	v_cmp_le_u32_e64 s[0:1], s21, v10
	v_cndmask_b32_e64 v12, 0, -1, s[0:1]
	v_cmp_le_u32_e64 s[0:1], s20, v11
	v_cndmask_b32_e64 v11, 0, -1, s[0:1]
	v_cmp_eq_u32_e64 s[0:1], s21, v10
	v_cndmask_b32_e64 v10, v12, v11, s[0:1]
	v_add_co_u32_e64 v11, s[0:1], 2, v4
	v_addc_co_u32_e64 v12, s[0:1], 0, v9, s[0:1]
	v_add_co_u32_e64 v13, s[0:1], 1, v4
	v_addc_co_u32_e64 v14, s[0:1], 0, v9, s[0:1]
	v_subb_co_u32_e32 v8, vcc, v6, v8, vcc
	v_cmp_ne_u32_e64 s[0:1], 0, v10
	v_cmp_le_u32_e32 vcc, s21, v8
	v_cndmask_b32_e64 v10, v14, v12, s[0:1]
	v_cndmask_b32_e64 v12, 0, -1, vcc
	v_cmp_le_u32_e32 vcc, s20, v7
	v_cndmask_b32_e64 v7, 0, -1, vcc
	v_cmp_eq_u32_e32 vcc, s21, v8
	v_cndmask_b32_e32 v7, v12, v7, vcc
	v_cmp_ne_u32_e32 vcc, 0, v7
	v_cndmask_b32_e64 v7, v13, v11, s[0:1]
	v_cndmask_b32_e32 v8, v9, v10, vcc
	v_cndmask_b32_e32 v7, v4, v7, vcc
.LBB0_4:                                ;   in Loop: Header=BB0_2 Depth=1
	s_andn2_saveexec_b64 s[0:1], s[22:23]
	s_cbranch_execz .LBB0_6
; %bb.5:                                ;   in Loop: Header=BB0_2 Depth=1
	v_cvt_f32_u32_e32 v4, s20
	s_sub_i32 s22, 0, s20
	v_rcp_iflag_f32_e32 v4, v4
	v_mul_f32_e32 v4, 0x4f7ffffe, v4
	v_cvt_u32_f32_e32 v4, v4
	v_mul_lo_u32 v7, s22, v4
	v_mul_hi_u32 v7, v4, v7
	v_add_u32_e32 v4, v4, v7
	v_mul_hi_u32 v4, v5, v4
	v_mul_lo_u32 v7, v4, s20
	v_add_u32_e32 v8, 1, v4
	v_sub_u32_e32 v7, v5, v7
	v_subrev_u32_e32 v9, s20, v7
	v_cmp_le_u32_e32 vcc, s20, v7
	v_cndmask_b32_e32 v7, v7, v9, vcc
	v_cndmask_b32_e32 v4, v4, v8, vcc
	v_add_u32_e32 v8, 1, v4
	v_cmp_le_u32_e32 vcc, s20, v7
	v_cndmask_b32_e32 v7, v4, v8, vcc
	v_mov_b32_e32 v8, v3
.LBB0_6:                                ;   in Loop: Header=BB0_2 Depth=1
	s_or_b64 exec, exec, s[0:1]
	v_mul_lo_u32 v4, v8, s20
	v_mul_lo_u32 v11, v7, s21
	v_mad_u64_u32 v[9:10], s[0:1], v7, s20, 0
	s_load_dwordx2 s[0:1], s[6:7], 0x0
	s_add_u32 s18, s18, 1
	v_add3_u32 v4, v10, v11, v4
	v_sub_co_u32_e32 v5, vcc, v5, v9
	v_subb_co_u32_e32 v4, vcc, v6, v4, vcc
	s_waitcnt lgkmcnt(0)
	v_mul_lo_u32 v4, s0, v4
	v_mul_lo_u32 v6, s1, v5
	v_mad_u64_u32 v[1:2], s[0:1], s0, v5, v[1:2]
	s_addc_u32 s19, s19, 0
	s_add_u32 s6, s6, 8
	v_add3_u32 v2, v6, v2, v4
	v_mov_b32_e32 v4, s10
	v_mov_b32_e32 v5, s11
	s_addc_u32 s7, s7, 0
	v_cmp_ge_u64_e32 vcc, s[18:19], v[4:5]
	s_add_u32 s16, s16, 8
	s_addc_u32 s17, s17, 0
	s_cbranch_vccnz .LBB0_9
; %bb.7:                                ;   in Loop: Header=BB0_2 Depth=1
	v_mov_b32_e32 v5, v7
	v_mov_b32_e32 v6, v8
	s_branch .LBB0_2
.LBB0_8:
	v_mov_b32_e32 v8, v6
	v_mov_b32_e32 v7, v5
.LBB0_9:
	s_lshl_b64 s[0:1], s[10:11], 3
	s_add_u32 s0, s2, s0
	s_addc_u32 s1, s3, s1
	s_load_dwordx2 s[2:3], s[0:1], 0x0
	s_load_dwordx2 s[6:7], s[4:5], 0x20
                                        ; implicit-def: $vgpr24
                                        ; implicit-def: $vgpr25
                                        ; implicit-def: $vgpr23
	s_waitcnt lgkmcnt(0)
	v_mad_u64_u32 v[1:2], s[0:1], s2, v7, v[1:2]
	s_mov_b32 s0, 0x1e573ad
	v_mul_lo_u32 v3, s2, v8
	v_mul_lo_u32 v4, s3, v7
	v_mul_hi_u32 v5, v0, s0
	v_cmp_gt_u64_e32 vcc, s[6:7], v[7:8]
	v_cmp_le_u64_e64 s[0:1], s[6:7], v[7:8]
	v_add3_u32 v2, v4, v2, v3
	v_mul_u32_u24_e32 v3, 0x87, v5
	v_sub_u32_e32 v22, v0, v3
	s_and_saveexec_b64 s[2:3], s[0:1]
	s_xor_b64 s[0:1], exec, s[2:3]
; %bb.10:
	v_add_u32_e32 v24, 0x87, v22
	v_add_u32_e32 v25, 0x10e, v22
	;; [unrolled: 1-line block ×3, first 2 shown]
; %bb.11:
	s_or_saveexec_b64 s[2:3], s[0:1]
	v_lshlrev_b64 v[0:1], 3, v[1:2]
                                        ; implicit-def: $vgpr5
                                        ; implicit-def: $vgpr3
                                        ; implicit-def: $vgpr7
                                        ; implicit-def: $vgpr9
                                        ; implicit-def: $vgpr11
                                        ; implicit-def: $vgpr13
                                        ; implicit-def: $vgpr15
                                        ; implicit-def: $vgpr17
                                        ; implicit-def: $vgpr19
                                        ; implicit-def: $vgpr21
	s_xor_b64 exec, exec, s[2:3]
	s_cbranch_execz .LBB0_13
; %bb.12:
	v_mad_u64_u32 v[2:3], s[0:1], s12, v22, 0
	v_add_u32_e32 v25, 0x10e, v22
	v_mov_b32_e32 v6, s15
	v_mad_u64_u32 v[3:4], s[0:1], s13, v22, v[3:4]
	v_mad_u64_u32 v[4:5], s[0:1], s12, v25, 0
	v_add_co_u32_e64 v10, s[0:1], s14, v0
	v_addc_co_u32_e64 v11, s[0:1], v6, v1, s[0:1]
	v_mad_u64_u32 v[5:6], s[0:1], s13, v25, v[5:6]
	v_add_u32_e32 v8, 0x21c, v22
	v_mad_u64_u32 v[6:7], s[0:1], s12, v8, 0
	v_lshlrev_b64 v[2:3], 3, v[2:3]
	v_add_u32_e32 v24, 0x87, v22
	v_add_co_u32_e64 v26, s[0:1], v10, v2
	v_addc_co_u32_e64 v27, s[0:1], v11, v3, s[0:1]
	v_lshlrev_b64 v[2:3], 3, v[4:5]
	v_mov_b32_e32 v4, v7
	v_mad_u64_u32 v[4:5], s[0:1], s13, v8, v[4:5]
	v_add_u32_e32 v5, 0x32a, v22
	v_mad_u64_u32 v[8:9], s[0:1], s12, v5, 0
	v_add_co_u32_e64 v28, s[0:1], v10, v2
	v_mov_b32_e32 v7, v4
	v_mov_b32_e32 v4, v9
	v_addc_co_u32_e64 v29, s[0:1], v11, v3, s[0:1]
	v_lshlrev_b64 v[2:3], 3, v[6:7]
	v_mad_u64_u32 v[4:5], s[0:1], s13, v5, v[4:5]
	v_add_u32_e32 v7, 0x438, v22
	v_mad_u64_u32 v[5:6], s[0:1], s12, v7, 0
	v_add_co_u32_e64 v30, s[0:1], v10, v2
	v_mov_b32_e32 v9, v4
	v_mov_b32_e32 v4, v6
	v_addc_co_u32_e64 v31, s[0:1], v11, v3, s[0:1]
	v_mad_u64_u32 v[6:7], s[0:1], s13, v7, v[4:5]
	v_lshlrev_b64 v[2:3], 3, v[8:9]
	v_mad_u64_u32 v[7:8], s[0:1], s12, v24, 0
	v_add_co_u32_e64 v32, s[0:1], v10, v2
	v_mov_b32_e32 v4, v8
	v_addc_co_u32_e64 v33, s[0:1], v11, v3, s[0:1]
	v_lshlrev_b64 v[2:3], 3, v[5:6]
	v_mad_u64_u32 v[4:5], s[0:1], s13, v24, v[4:5]
	v_add_u32_e32 v23, 0x195, v22
	v_mad_u64_u32 v[5:6], s[0:1], s12, v23, 0
	v_add_co_u32_e64 v34, s[0:1], v10, v2
	v_mov_b32_e32 v8, v4
	v_mov_b32_e32 v4, v6
	v_addc_co_u32_e64 v35, s[0:1], v11, v3, s[0:1]
	v_lshlrev_b64 v[2:3], 3, v[7:8]
	v_mad_u64_u32 v[6:7], s[0:1], s13, v23, v[4:5]
	v_add_u32_e32 v9, 0x2a3, v22
	v_mad_u64_u32 v[7:8], s[0:1], s12, v9, 0
	v_add_co_u32_e64 v36, s[0:1], v10, v2
	v_mov_b32_e32 v4, v8
	v_addc_co_u32_e64 v37, s[0:1], v11, v3, s[0:1]
	v_lshlrev_b64 v[2:3], 3, v[5:6]
	v_mad_u64_u32 v[4:5], s[0:1], s13, v9, v[4:5]
	v_add_u32_e32 v9, 0x3b1, v22
	v_mad_u64_u32 v[5:6], s[0:1], s12, v9, 0
	v_add_co_u32_e64 v38, s[0:1], v10, v2
	v_mov_b32_e32 v8, v4
	v_mov_b32_e32 v4, v6
	v_addc_co_u32_e64 v39, s[0:1], v11, v3, s[0:1]
	v_lshlrev_b64 v[2:3], 3, v[7:8]
	v_mad_u64_u32 v[6:7], s[0:1], s13, v9, v[4:5]
	v_add_u32_e32 v9, 0x4bf, v22
	v_mad_u64_u32 v[7:8], s[0:1], s12, v9, 0
	v_add_co_u32_e64 v40, s[0:1], v10, v2
	v_mov_b32_e32 v4, v8
	v_addc_co_u32_e64 v41, s[0:1], v11, v3, s[0:1]
	v_lshlrev_b64 v[2:3], 3, v[5:6]
	v_mad_u64_u32 v[4:5], s[0:1], s13, v9, v[4:5]
	v_add_co_u32_e64 v42, s[0:1], v10, v2
	v_mov_b32_e32 v8, v4
	v_addc_co_u32_e64 v43, s[0:1], v11, v3, s[0:1]
	v_lshlrev_b64 v[2:3], 3, v[7:8]
	v_add_co_u32_e64 v44, s[0:1], v10, v2
	v_addc_co_u32_e64 v45, s[0:1], v11, v3, s[0:1]
	global_load_dwordx2 v[20:21], v[26:27], off
	global_load_dwordx2 v[18:19], v[28:29], off
	;; [unrolled: 1-line block ×10, first 2 shown]
.LBB0_13:
	s_or_b64 exec, exec, s[2:3]
	s_waitcnt vmcnt(6)
	v_add_f32_e32 v27, v14, v16
	v_fma_f32 v28, -0.5, v27, v20
	v_add_f32_e32 v26, v18, v20
	s_waitcnt vmcnt(5)
	v_sub_f32_e32 v30, v19, v13
	v_mov_b32_e32 v31, v28
	v_add_f32_e32 v26, v16, v26
	v_sub_f32_e32 v27, v18, v16
	v_sub_f32_e32 v29, v12, v14
	v_fmac_f32_e32 v31, 0xbf737871, v30
	v_sub_f32_e32 v32, v17, v15
	v_add_f32_e32 v26, v14, v26
	v_add_f32_e32 v29, v29, v27
	v_fmac_f32_e32 v31, 0xbf167918, v32
	v_add_f32_e32 v26, v12, v26
	v_fmac_f32_e32 v31, 0x3e9e377a, v29
	v_mad_u32_u24 v27, v22, 20, 0
	v_fmac_f32_e32 v28, 0x3f737871, v30
	ds_write2_b32 v27, v26, v31 offset1:1
	v_fmac_f32_e32 v28, 0x3f167918, v32
	v_add_f32_e32 v26, v12, v18
	v_fmac_f32_e32 v28, 0x3e9e377a, v29
	v_fmac_f32_e32 v20, -0.5, v26
	v_sub_f32_e32 v26, v16, v18
	v_sub_f32_e32 v29, v14, v12
	v_add_f32_e32 v26, v29, v26
	v_mov_b32_e32 v29, v20
	v_fmac_f32_e32 v29, 0x3f737871, v32
	v_fmac_f32_e32 v20, 0xbf737871, v32
	;; [unrolled: 1-line block ×6, first 2 shown]
	ds_write_b32 v27, v28 offset:16
	s_waitcnt vmcnt(1)
	v_add_f32_e32 v28, v2, v6
	v_sub_f32_e32 v26, v8, v6
	s_waitcnt vmcnt(0)
	v_sub_f32_e32 v30, v4, v2
	ds_write2_b32 v27, v29, v20 offset0:2 offset1:3
	v_fma_f32 v29, -0.5, v28, v10
	v_add_f32_e32 v26, v30, v26
	v_add_f32_e32 v20, v8, v10
	v_sub_f32_e32 v30, v9, v5
	v_mov_b32_e32 v31, v29
	v_add_f32_e32 v20, v6, v20
	v_fmac_f32_e32 v31, 0xbf737871, v30
	v_sub_f32_e32 v32, v7, v3
	v_add_f32_e32 v20, v2, v20
	v_fmac_f32_e32 v31, 0xbf167918, v32
	v_add_f32_e32 v20, v4, v20
	v_fmac_f32_e32 v31, 0x3e9e377a, v26
	v_mad_i32_i24 v28, v24, 20, 0
	ds_write2_b32 v28, v20, v31 offset1:1
	v_add_f32_e32 v20, v15, v17
	v_sub_f32_e32 v35, v18, v12
	v_add_f32_e32 v12, v4, v8
	v_fma_f32 v31, -0.5, v20, v21
	v_add_f32_e32 v33, v19, v21
	v_add_f32_e32 v20, v13, v19
	v_sub_f32_e32 v16, v16, v14
	v_fmac_f32_e32 v10, -0.5, v12
	v_sub_f32_e32 v12, v6, v8
	v_sub_f32_e32 v14, v2, v4
	v_fmac_f32_e32 v21, -0.5, v20
	v_sub_f32_e32 v20, v17, v19
	v_add_f32_e32 v12, v14, v12
	v_mov_b32_e32 v14, v10
	v_sub_f32_e32 v19, v19, v17
	v_add_f32_e32 v17, v17, v33
	v_fmac_f32_e32 v14, 0x3f737871, v32
	v_fmac_f32_e32 v10, 0xbf737871, v32
	v_add_f32_e32 v17, v15, v17
	v_sub_f32_e32 v34, v15, v13
	v_fmac_f32_e32 v29, 0x3f737871, v30
	v_fmac_f32_e32 v14, 0xbf167918, v30
	;; [unrolled: 1-line block ×3, first 2 shown]
	v_sub_f32_e32 v15, v13, v15
	v_add_f32_e32 v13, v13, v17
	v_mov_b32_e32 v17, v31
	v_add_f32_e32 v20, v34, v20
	v_mov_b32_e32 v34, v21
	v_fmac_f32_e32 v29, 0x3f167918, v32
	v_fmac_f32_e32 v14, 0x3e9e377a, v12
	;; [unrolled: 1-line block ×3, first 2 shown]
	v_lshlrev_b32_e32 v52, 4, v22
	v_fmac_f32_e32 v17, 0x3f737871, v35
	v_fmac_f32_e32 v34, 0xbf737871, v16
	;; [unrolled: 1-line block ×4, first 2 shown]
	ds_write2_b32 v28, v14, v10 offset0:2 offset1:3
	ds_write_b32 v28, v29 offset:16
	v_sub_u32_e32 v12, v27, v52
	v_lshlrev_b32_e32 v10, 4, v24
	v_add_f32_e32 v15, v15, v19
	v_fmac_f32_e32 v17, 0x3f167918, v16
	v_fmac_f32_e32 v34, 0x3f167918, v35
	;; [unrolled: 1-line block ×3, first 2 shown]
	v_sub_u32_e32 v14, v28, v10
	v_lshl_add_u32 v26, v25, 2, 0
	v_add_u32_e32 v55, 0x800, v12
	v_fmac_f32_e32 v17, 0x3e9e377a, v15
	v_fmac_f32_e32 v31, 0xbf737871, v35
	v_fmac_f32_e32 v34, 0x3e9e377a, v20
	v_fmac_f32_e32 v21, 0x3e9e377a, v20
	s_waitcnt lgkmcnt(0)
	s_barrier
	ds_read_b32 v36, v26
	v_lshl_add_u32 v20, v23, 2, 0
	ds_read_b32 v37, v14
	ds_read_b32 v53, v12
	;; [unrolled: 1-line block ×3, first 2 shown]
	v_add_u32_e32 v56, 0xc00, v12
	v_add_u32_e32 v18, 0x1000, v12
	ds_read2_b32 v[46:47], v55 offset0:28 offset1:163
	ds_read2_b32 v[48:49], v56 offset0:42 offset1:177
	;; [unrolled: 1-line block ×3, first 2 shown]
	s_waitcnt lgkmcnt(0)
	s_barrier
	ds_write2_b32 v27, v13, v17 offset1:1
	v_fmac_f32_e32 v31, 0xbf167918, v16
	v_add_f32_e32 v13, v3, v7
	v_add_f32_e32 v16, v5, v9
	v_fmac_f32_e32 v31, 0x3e9e377a, v15
	v_fma_f32 v13, -0.5, v13, v11
	v_add_f32_e32 v15, v9, v11
	v_fmac_f32_e32 v11, -0.5, v16
	v_sub_f32_e32 v2, v6, v2
	v_mov_b32_e32 v6, v11
	v_sub_f32_e32 v16, v7, v9
	v_sub_f32_e32 v17, v3, v5
	v_fmac_f32_e32 v6, 0xbf737871, v2
	v_sub_f32_e32 v4, v8, v4
	v_add_f32_e32 v16, v17, v16
	v_fmac_f32_e32 v6, 0x3f167918, v4
	v_fmac_f32_e32 v11, 0x3f737871, v2
	;; [unrolled: 1-line block ×4, first 2 shown]
	ds_write2_b32 v27, v34, v21 offset0:2 offset1:3
	v_fmac_f32_e32 v11, 0x3e9e377a, v16
	ds_write_b32 v27, v31 offset:16
	ds_write2_b32 v28, v6, v11 offset0:2 offset1:3
	v_sub_f32_e32 v6, v9, v7
	v_add_f32_e32 v7, v7, v15
	v_add_f32_e32 v7, v3, v7
	v_sub_f32_e32 v3, v5, v3
	v_add_f32_e32 v3, v3, v6
	v_mov_b32_e32 v6, v13
	v_fmac_f32_e32 v6, 0x3f737871, v4
	v_fmac_f32_e32 v13, 0xbf737871, v4
	s_movk_i32 s0, 0xcd
	v_fmac_f32_e32 v6, 0x3f167918, v2
	v_fmac_f32_e32 v13, 0xbf167918, v2
	v_mul_lo_u16_sdwa v2, v22, s0 dst_sel:DWORD dst_unused:UNUSED_PAD src0_sel:BYTE_0 src1_sel:DWORD
	v_lshrrev_b16_e32 v15, 10, v2
	v_mul_lo_u16_e32 v2, 5, v15
	v_sub_u16_e32 v16, v22, v2
	v_mov_b32_e32 v2, 9
	v_mul_u32_u24_sdwa v2, v16, v2 dst_sel:DWORD dst_unused:UNUSED_PAD src0_sel:BYTE_0 src1_sel:DWORD
	v_add_f32_e32 v5, v5, v7
	v_fmac_f32_e32 v6, 0x3e9e377a, v3
	v_lshlrev_b32_e32 v8, 3, v2
	v_fmac_f32_e32 v13, 0x3e9e377a, v3
	ds_write2_b32 v28, v5, v6 offset1:1
	ds_write_b32 v28, v13 offset:16
	s_waitcnt lgkmcnt(0)
	s_barrier
	global_load_dwordx4 v[2:5], v8, s[8:9]
	global_load_dwordx4 v[29:32], v8, s[8:9] offset:16
	global_load_dwordx4 v[38:41], v8, s[8:9] offset:32
	;; [unrolled: 1-line block ×3, first 2 shown]
	global_load_dwordx2 v[6:7], v8, s[8:9] offset:64
	ds_read_b32 v11, v14
	ds_read_b32 v13, v26
	;; [unrolled: 1-line block ×4, first 2 shown]
	v_mul_u32_u24_e32 v15, 0xc8, v15
	s_mov_b32 s5, 0x3f737871
	s_mov_b32 s4, 0x3f167918
	v_sub_u32_e32 v10, 0, v10
	v_cmp_gt_u32_e64 s[0:1], 45, v22
	s_waitcnt vmcnt(4) lgkmcnt(3)
	v_mul_f32_e32 v9, v11, v3
	v_mul_f32_e32 v3, v37, v3
	v_fmac_f32_e32 v9, v37, v2
	v_fma_f32 v11, v11, v2, -v3
	v_mul_f32_e32 v2, v36, v5
	s_waitcnt lgkmcnt(2)
	v_fma_f32 v17, v13, v4, -v2
	ds_read2_b32 v[2:3], v55 offset0:28 offset1:163
	v_mul_f32_e32 v34, v13, v5
	v_fmac_f32_e32 v34, v36, v4
	s_waitcnt vmcnt(3)
	v_mul_f32_e32 v4, v54, v30
	s_waitcnt lgkmcnt(2)
	v_fma_f32 v13, v19, v29, -v4
	v_mul_f32_e32 v4, v46, v32
	v_mul_f32_e32 v21, v19, v30
	s_waitcnt lgkmcnt(0)
	v_fma_f32 v30, v2, v31, -v4
	ds_read2_b32 v[4:5], v56 offset0:42 offset1:177
	v_mul_f32_e32 v36, v2, v32
	s_waitcnt vmcnt(2)
	v_mul_f32_e32 v2, v47, v39
	v_fma_f32 v19, v3, v38, -v2
	v_mul_f32_e32 v2, v48, v41
	v_fmac_f32_e32 v36, v46, v31
	v_mul_f32_e32 v46, v3, v39
	s_waitcnt lgkmcnt(0)
	v_fma_f32 v32, v4, v40, -v2
	ds_read2_b32 v[2:3], v18 offset0:56 offset1:191
	v_fmac_f32_e32 v21, v54, v29
	v_mul_f32_e32 v39, v4, v41
	s_waitcnt vmcnt(1)
	v_mul_f32_e32 v4, v5, v43
	v_mul_f32_e32 v29, v49, v43
	v_fmac_f32_e32 v4, v49, v42
	v_fma_f32 v31, v5, v42, -v29
	s_waitcnt lgkmcnt(0)
	v_mul_f32_e32 v42, v2, v45
	v_mul_f32_e32 v5, v50, v45
	v_fmac_f32_e32 v39, v48, v40
	v_fmac_f32_e32 v42, v50, v44
	v_fma_f32 v35, v2, v44, -v5
	s_waitcnt vmcnt(0)
	v_mul_f32_e32 v2, v3, v7
	v_mul_f32_e32 v5, v51, v7
	v_fmac_f32_e32 v46, v47, v38
	v_fmac_f32_e32 v2, v51, v6
	v_fma_f32 v33, v3, v6, -v5
	v_sub_f32_e32 v3, v34, v36
	v_sub_f32_e32 v5, v42, v39
	v_add_f32_e32 v3, v3, v5
	v_sub_f32_e32 v5, v21, v46
	v_sub_f32_e32 v6, v2, v4
	v_add_f32_e32 v37, v9, v21
	v_add_f32_e32 v5, v5, v6
	v_sub_f32_e32 v6, v13, v19
	v_sub_f32_e32 v7, v33, v31
	v_add_f32_e32 v37, v37, v46
	v_add_f32_e32 v6, v6, v7
	v_mov_b32_e32 v7, 2
	v_add_f32_e32 v37, v37, v4
	v_add_f32_e32 v40, v19, v31
	v_lshlrev_b32_sdwa v7, v7, v16 dst_sel:DWORD dst_unused:UNUSED_PAD src0_sel:DWORD src1_sel:BYTE_0
	v_add_f32_e32 v48, v37, v2
	v_add_f32_e32 v37, v46, v4
	v_fma_f32 v40, -0.5, v40, v11
	v_add3_u32 v29, 0, v15, v7
	v_add_f32_e32 v15, v36, v39
	v_fma_f32 v37, -0.5, v37, v9
	v_sub_f32_e32 v51, v21, v2
	v_mov_b32_e32 v43, v40
	v_fma_f32 v15, -0.5, v15, v53
	v_sub_f32_e32 v49, v13, v33
	v_mov_b32_e32 v41, v37
	v_fmac_f32_e32 v43, 0x3f737871, v51
	v_sub_f32_e32 v54, v46, v4
	v_add_f32_e32 v7, v53, v34
	v_sub_f32_e32 v16, v17, v35
	v_mov_b32_e32 v38, v15
	v_fmac_f32_e32 v41, 0xbf737871, v49
	v_sub_f32_e32 v50, v19, v31
	v_fmac_f32_e32 v43, 0x3f167918, v54
	v_add_f32_e32 v7, v7, v36
	v_fmac_f32_e32 v38, 0xbf737871, v16
	v_sub_f32_e32 v47, v30, v32
	v_fmac_f32_e32 v41, 0xbf167918, v50
	v_fmac_f32_e32 v43, 0x3e9e377a, v6
	v_add_f32_e32 v7, v7, v39
	v_fmac_f32_e32 v38, 0xbf167918, v47
	v_fmac_f32_e32 v41, 0x3e9e377a, v5
	v_mul_f32_e32 v55, 0xbf167918, v43
	v_add_f32_e32 v7, v7, v42
	v_fmac_f32_e32 v38, 0x3e9e377a, v3
	v_fmac_f32_e32 v55, 0x3f4f1bbd, v41
	v_add_f32_e32 v44, v7, v48
	v_add_f32_e32 v45, v38, v55
	s_barrier
	ds_write2_b32 v29, v44, v45 offset1:5
	v_add_f32_e32 v44, v34, v42
	v_fmac_f32_e32 v53, -0.5, v44
	v_mov_b32_e32 v56, v53
	v_sub_f32_e32 v44, v36, v34
	v_sub_f32_e32 v45, v39, v42
	v_fmac_f32_e32 v56, 0x3f737871, v47
	v_fmac_f32_e32 v53, 0xbf737871, v47
	v_add_f32_e32 v44, v44, v45
	v_fmac_f32_e32 v56, 0xbf167918, v16
	v_fmac_f32_e32 v53, 0x3f167918, v16
	;; [unrolled: 1-line block ×4, first 2 shown]
	v_add_f32_e32 v44, v21, v2
	v_fmac_f32_e32 v9, -0.5, v44
	v_mov_b32_e32 v44, v9
	v_sub_f32_e32 v21, v46, v21
	v_sub_f32_e32 v2, v4, v2
	v_fmac_f32_e32 v44, 0x3f737871, v50
	v_fmac_f32_e32 v9, 0xbf737871, v50
	v_add_f32_e32 v2, v21, v2
	v_fmac_f32_e32 v44, 0xbf167918, v49
	v_fmac_f32_e32 v9, 0x3f167918, v49
	;; [unrolled: 1-line block ×4, first 2 shown]
	v_sub_f32_e32 v2, v19, v13
	v_sub_f32_e32 v4, v31, v33
	v_add_f32_e32 v2, v2, v4
	v_add_f32_e32 v4, v13, v33
	v_fma_f32 v45, -0.5, v4, v11
	v_mov_b32_e32 v46, v45
	v_fmac_f32_e32 v40, 0xbf737871, v51
	v_fmac_f32_e32 v46, 0xbf737871, v54
	;; [unrolled: 1-line block ×13, first 2 shown]
	v_mul_f32_e32 v5, 0xbf167918, v40
	v_fmac_f32_e32 v45, 0x3e9e377a, v2
	v_mul_f32_e32 v2, 0xbf737871, v46
	v_fmac_f32_e32 v15, 0x3e9e377a, v3
	v_fmac_f32_e32 v5, 0xbf4f1bbd, v37
	;; [unrolled: 1-line block ×3, first 2 shown]
	v_mul_f32_e32 v4, 0xbf737871, v45
	v_sub_f32_e32 v3, v7, v48
	v_add_f32_e32 v6, v15, v5
	v_fmac_f32_e32 v4, 0xbe9e377a, v9
	v_add_f32_e32 v21, v56, v2
	ds_write2_b32 v29, v6, v3 offset0:20 offset1:25
	v_sub_f32_e32 v3, v38, v55
	v_sub_f32_e32 v2, v56, v2
	ds_write2_b32 v29, v3, v2 offset0:30 offset1:35
	v_sub_f32_e32 v2, v53, v4
	v_sub_f32_e32 v16, v15, v5
	ds_write2_b32 v29, v2, v16 offset0:40 offset1:45
	v_sub_u32_e32 v2, 0, v52
	v_add_f32_e32 v57, v53, v4
	v_add_u32_e32 v27, v27, v2
	v_add_u32_e32 v2, 0x600, v12
	;; [unrolled: 1-line block ×3, first 2 shown]
	ds_write2_b32 v29, v21, v57 offset0:10 offset1:15
	s_waitcnt lgkmcnt(0)
	s_barrier
	ds_read2_b32 v[6:7], v2 offset0:66 offset1:201
	ds_read2_b32 v[4:5], v3 offset0:16 offset1:196
	;; [unrolled: 1-line block ×3, first 2 shown]
	ds_read_b32 v15, v14
	ds_read_b32 v18, v12
	;; [unrolled: 1-line block ×3, first 2 shown]
                                        ; implicit-def: $vgpr21
                                        ; implicit-def: $vgpr38
	s_and_saveexec_b64 s[2:3], s[0:1]
	s_cbranch_execz .LBB0_15
; %bb.14:
	ds_read_b32 v16, v20
	ds_read_b32 v38, v27 offset:3420
	ds_read_b32 v21, v27 offset:5220
.LBB0_15:
	s_or_b64 exec, exec, s[2:3]
	v_add_f32_e32 v47, v30, v32
	v_fma_f32 v47, -0.5, v47, v8
	v_sub_f32_e32 v34, v34, v42
	v_mov_b32_e32 v42, v47
	v_fmac_f32_e32 v42, 0x3f737871, v34
	v_sub_f32_e32 v36, v36, v39
	v_sub_f32_e32 v39, v17, v30
	;; [unrolled: 1-line block ×3, first 2 shown]
	v_fmac_f32_e32 v47, 0xbf737871, v34
	v_fmac_f32_e32 v42, 0x3f167918, v36
	v_add_f32_e32 v39, v39, v48
	v_fmac_f32_e32 v47, 0xbf167918, v36
	v_fmac_f32_e32 v42, 0x3e9e377a, v39
	;; [unrolled: 1-line block ×3, first 2 shown]
	v_add_f32_e32 v39, v17, v35
	v_add_f32_e32 v12, v8, v17
	v_fmac_f32_e32 v8, -0.5, v39
	v_mov_b32_e32 v39, v8
	v_add_f32_e32 v12, v12, v30
	v_fmac_f32_e32 v39, 0xbf737871, v36
	v_sub_f32_e32 v17, v30, v17
	v_sub_f32_e32 v30, v32, v35
	v_fmac_f32_e32 v8, 0x3f737871, v36
	v_add_f32_e32 v11, v11, v13
	v_fmac_f32_e32 v39, 0x3f167918, v34
	v_add_f32_e32 v17, v17, v30
	;; [unrolled: 2-line block ×3, first 2 shown]
	v_add_f32_e32 v12, v12, v32
	v_fmac_f32_e32 v39, 0x3e9e377a, v17
	v_fmac_f32_e32 v8, 0x3e9e377a, v17
	v_add_f32_e32 v11, v11, v31
	v_mul_f32_e32 v17, 0x3f4f1bbd, v43
	v_mul_f32_e32 v32, 0x3e9e377a, v45
	v_add_f32_e32 v12, v12, v35
	v_add_f32_e32 v11, v11, v33
	v_fmac_f32_e32 v17, 0x3f167918, v41
	v_mul_f32_e32 v30, 0x3e9e377a, v46
	v_fma_f32 v9, v9, s5, -v32
	v_mul_f32_e32 v33, 0x3f4f1bbd, v40
	v_add_f32_e32 v13, v12, v11
	v_add_f32_e32 v19, v42, v17
	v_fmac_f32_e32 v30, 0x3f737871, v44
	v_add_f32_e32 v32, v8, v9
	v_fma_f32 v33, v37, s4, -v33
	v_sub_f32_e32 v8, v8, v9
	v_add_f32_e32 v31, v39, v30
	v_add_f32_e32 v34, v47, v33
	v_sub_f32_e32 v11, v12, v11
	v_sub_f32_e32 v12, v42, v17
	;; [unrolled: 1-line block ×4, first 2 shown]
	s_waitcnt lgkmcnt(0)
	s_barrier
	ds_write2_b32 v29, v13, v19 offset1:5
	ds_write2_b32 v29, v31, v32 offset0:10 offset1:15
	ds_write2_b32 v29, v34, v11 offset0:20 offset1:25
	;; [unrolled: 1-line block ×4, first 2 shown]
	v_add_u32_e32 v8, 0x600, v27
	s_waitcnt lgkmcnt(0)
	s_barrier
	ds_read2_b32 v[12:13], v8 offset0:66 offset1:201
	v_add_u32_e32 v8, 0xb00, v27
	v_add_u32_e32 v29, v28, v10
	;; [unrolled: 1-line block ×3, first 2 shown]
	ds_read2_b32 v[8:9], v8 offset0:16 offset1:196
	ds_read2_b32 v[10:11], v10 offset0:11 offset1:146
	ds_read_b32 v32, v27
	ds_read_b32 v30, v29
	;; [unrolled: 1-line block ×3, first 2 shown]
                                        ; implicit-def: $vgpr40
                                        ; implicit-def: $vgpr41
	s_and_saveexec_b64 s[2:3], s[0:1]
	s_cbranch_execz .LBB0_17
; %bb.16:
	ds_read_b32 v17, v20
	ds_read_b32 v41, v27 offset:3420
	ds_read_b32 v40, v27 offset:5220
.LBB0_17:
	s_or_b64 exec, exec, s[2:3]
	v_mov_b32_e32 v28, 41
	v_mul_lo_u16_sdwa v28, v22, v28 dst_sel:DWORD dst_unused:UNUSED_PAD src0_sel:BYTE_0 src1_sel:DWORD
	v_lshrrev_b16_e32 v47, 11, v28
	v_mul_lo_u16_e32 v28, 50, v47
	v_sub_u16_e32 v48, v22, v28
	v_mov_b32_e32 v28, 4
	v_lshlrev_b32_sdwa v28, v28, v48 dst_sel:DWORD dst_unused:UNUSED_PAD src0_sel:DWORD src1_sel:BYTE_0
	global_load_dwordx4 v[33:36], v28, s[8:9] offset:360
	v_lshrrev_b16_e32 v31, 1, v25
	s_waitcnt vmcnt(0) lgkmcnt(5)
	v_mul_f32_e32 v28, v12, v34
	v_fmac_f32_e32 v28, v6, v33
	v_mul_f32_e32 v6, v6, v34
	v_fma_f32 v34, v12, v33, -v6
	v_lshrrev_b16_e32 v6, 1, v24
	v_mul_u32_u24_e32 v6, 0x147b, v6
	v_lshrrev_b32_e32 v49, 17, v6
	v_mul_lo_u16_e32 v6, 50, v49
	v_sub_u16_e32 v50, v24, v6
	v_lshlrev_b32_e32 v6, 4, v50
	global_load_dwordx4 v[42:45], v6, s[8:9] offset:360
	s_waitcnt lgkmcnt(4)
	v_mul_f32_e32 v12, v9, v36
	v_fmac_f32_e32 v12, v5, v35
	v_mul_f32_e32 v5, v5, v36
	v_fma_f32 v5, v9, v35, -v5
	v_lshrrev_b16_e32 v33, 1, v23
	s_waitcnt vmcnt(0)
	v_mul_f32_e32 v6, v7, v43
	v_mul_f32_e32 v35, v13, v43
	v_fma_f32 v36, v13, v42, -v6
	s_waitcnt lgkmcnt(3)
	v_mul_f32_e32 v13, v10, v45
	v_fmac_f32_e32 v13, v2, v44
	v_mul_f32_e32 v2, v2, v45
	v_fma_f32 v10, v10, v44, -v2
	v_mul_u32_u24_e32 v2, 0x147b, v31
	v_lshrrev_b32_e32 v2, 17, v2
	v_mul_lo_u16_e32 v6, 50, v2
	v_sub_u16_e32 v51, v25, v6
	v_lshlrev_b32_e32 v6, 4, v51
	v_fmac_f32_e32 v35, v7, v42
	global_load_dwordx4 v[42:45], v6, s[8:9] offset:360
	v_mul_u32_u24_e32 v2, 0x258, v2
	s_waitcnt vmcnt(0)
	v_mul_f32_e32 v37, v8, v43
	v_fmac_f32_e32 v37, v4, v42
	v_mul_f32_e32 v4, v4, v43
	v_fma_f32 v39, v8, v42, -v4
	v_mul_f32_e32 v4, v11, v45
	v_fmac_f32_e32 v4, v3, v44
	v_mul_f32_e32 v3, v3, v45
	v_fma_f32 v11, v11, v44, -v3
	v_mul_u32_u24_e32 v3, 0x147b, v33
	v_lshrrev_b32_e32 v3, 17, v3
	v_mul_lo_u16_e32 v3, 50, v3
	v_sub_u16_e32 v3, v23, v3
	v_lshlrev_b32_e32 v6, 4, v3
	global_load_dwordx4 v[6:9], v6, s[8:9] offset:360
	s_waitcnt vmcnt(0) lgkmcnt(0)
	s_barrier
	v_mul_f32_e32 v43, v41, v7
	v_mul_f32_e32 v7, v38, v7
	v_fmac_f32_e32 v43, v38, v6
	v_fma_f32 v44, v41, v6, -v7
	v_mul_f32_e32 v6, v21, v9
	v_add_f32_e32 v7, v28, v12
	v_mul_f32_e32 v45, v40, v9
	v_fma_f32 v46, v40, v8, -v6
	v_add_f32_e32 v6, v18, v28
	v_fmac_f32_e32 v18, -0.5, v7
	v_fmac_f32_e32 v45, v21, v8
	v_sub_f32_e32 v7, v34, v5
	v_mov_b32_e32 v8, v18
	v_add_f32_e32 v9, v35, v13
	v_fmac_f32_e32 v8, 0xbf5db3d7, v7
	v_fmac_f32_e32 v18, 0x3f5db3d7, v7
	v_add_f32_e32 v7, v15, v35
	v_fmac_f32_e32 v15, -0.5, v9
	v_sub_f32_e32 v9, v36, v10
	v_mov_b32_e32 v38, v15
	v_add_f32_e32 v21, v37, v4
	v_fmac_f32_e32 v38, 0xbf5db3d7, v9
	v_fmac_f32_e32 v15, 0x3f5db3d7, v9
	v_add_f32_e32 v9, v14, v37
	v_fmac_f32_e32 v14, -0.5, v21
	;; [unrolled: 7-line block ×3, first 2 shown]
	v_sub_f32_e32 v41, v44, v46
	v_mov_b32_e32 v42, v16
	v_fmac_f32_e32 v42, 0xbf5db3d7, v41
	v_fmac_f32_e32 v16, 0x3f5db3d7, v41
	v_mul_u32_u24_e32 v41, 0x258, v47
	v_mov_b32_e32 v47, 2
	v_lshlrev_b32_sdwa v47, v47, v48 dst_sel:DWORD dst_unused:UNUSED_PAD src0_sel:DWORD src1_sel:BYTE_0
	v_add_f32_e32 v6, v6, v12
	v_add3_u32 v47, 0, v41, v47
	ds_write2_b32 v47, v6, v8 offset1:50
	ds_write_b32 v47, v18 offset:400
	v_mul_u32_u24_e32 v6, 0x258, v49
	v_lshlrev_b32_e32 v8, 2, v50
	v_add_f32_e32 v7, v7, v13
	v_add3_u32 v18, 0, v6, v8
	v_lshlrev_b32_e32 v6, 2, v51
	v_add_f32_e32 v9, v9, v4
	ds_write2_b32 v18, v7, v38 offset1:50
	ds_write_b32 v18, v15 offset:400
	v_add3_u32 v15, 0, v2, v6
	v_add_f32_e32 v21, v21, v45
	ds_write2_b32 v15, v9, v40 offset1:50
	ds_write_b32 v15, v14 offset:400
	v_lshl_add_u32 v14, v3, 2, 0
	s_and_saveexec_b64 s[2:3], s[0:1]
	s_cbranch_execz .LBB0_19
; %bb.18:
	v_add_u32_e32 v2, 0x1000, v14
	ds_write2_b32 v2, v21, v42 offset0:176 offset1:226
	ds_write_b32 v14, v16 offset:5200
.LBB0_19:
	s_or_b64 exec, exec, s[2:3]
	v_add_u32_e32 v6, 0xb00, v27
	s_waitcnt lgkmcnt(0)
	s_barrier
	v_add_u32_e32 v2, 0x600, v27
	ds_read2_b32 v[8:9], v6 offset0:16 offset1:196
	v_add_u32_e32 v6, 0x1000, v27
	ds_read2_b32 v[2:3], v2 offset0:66 offset1:201
	ds_read2_b32 v[6:7], v6 offset0:11 offset1:146
	ds_read_b32 v41, v27
	ds_read_b32 v40, v29
	;; [unrolled: 1-line block ×3, first 2 shown]
	s_and_saveexec_b64 s[2:3], s[0:1]
	s_cbranch_execz .LBB0_21
; %bb.20:
	ds_read_b32 v21, v20
	ds_read_b32 v42, v27 offset:3420
	ds_read_b32 v16, v27 offset:5220
.LBB0_21:
	s_or_b64 exec, exec, s[2:3]
	v_add_f32_e32 v48, v32, v34
	v_add_f32_e32 v48, v48, v5
	v_add_f32_e32 v5, v34, v5
	v_fmac_f32_e32 v32, -0.5, v5
	v_sub_f32_e32 v5, v28, v12
	v_mov_b32_e32 v12, v32
	v_fmac_f32_e32 v12, 0x3f5db3d7, v5
	v_fmac_f32_e32 v32, 0xbf5db3d7, v5
	v_add_f32_e32 v5, v30, v36
	v_add_f32_e32 v5, v5, v10
	v_add_f32_e32 v10, v36, v10
	v_fmac_f32_e32 v30, -0.5, v10
	v_sub_f32_e32 v10, v35, v13
	v_mov_b32_e32 v13, v30
	v_fmac_f32_e32 v13, 0x3f5db3d7, v10
	v_fmac_f32_e32 v30, 0xbf5db3d7, v10
	;; [unrolled: 8-line block ×4, first 2 shown]
	s_waitcnt lgkmcnt(0)
	s_barrier
	ds_write2_b32 v47, v48, v12 offset1:50
	ds_write_b32 v47, v32 offset:400
	ds_write2_b32 v18, v5, v13 offset1:50
	ds_write_b32 v18, v30 offset:400
	;; [unrolled: 2-line block ×3, first 2 shown]
	s_and_saveexec_b64 s[2:3], s[0:1]
	s_cbranch_execz .LBB0_23
; %bb.22:
	v_add_u32_e32 v4, 0x1000, v14
	ds_write2_b32 v4, v28, v35 offset0:176 offset1:226
	ds_write_b32 v14, v17 offset:5200
.LBB0_23:
	s_or_b64 exec, exec, s[2:3]
	v_add_u32_e32 v4, 0x600, v27
	s_waitcnt lgkmcnt(0)
	s_barrier
	ds_read2_b32 v[10:11], v4 offset0:66 offset1:201
	v_add_u32_e32 v4, 0xb00, v27
	ds_read2_b32 v[14:15], v4 offset0:16 offset1:196
	v_add_u32_e32 v4, 0x1000, v27
	ds_read2_b32 v[12:13], v4 offset0:11 offset1:146
	ds_read_b32 v34, v27
	ds_read_b32 v19, v29
	;; [unrolled: 1-line block ×3, first 2 shown]
	s_and_saveexec_b64 s[2:3], s[0:1]
	s_cbranch_execz .LBB0_25
; %bb.24:
	ds_read_b32 v28, v20
	ds_read_b32 v35, v27 offset:3420
	ds_read_b32 v17, v27 offset:5220
.LBB0_25:
	s_or_b64 exec, exec, s[2:3]
	v_lshlrev_b32_e32 v36, 1, v22
	v_mov_b32_e32 v37, 0
	v_lshlrev_b64 v[4:5], 3, v[36:37]
	v_mov_b32_e32 v39, s9
	v_add_co_u32_e64 v4, s[2:3], s8, v4
	v_addc_co_u32_e64 v5, s[2:3], v39, v5, s[2:3]
	v_add_u32_e32 v30, -15, v22
	v_cmp_gt_u32_e64 s[2:3], 15, v22
	v_cndmask_b32_e64 v58, v30, v24, s[2:3]
	v_mul_u32_u24_e32 v30, 0xda75, v31
	v_lshrrev_b32_e32 v59, 22, v30
	v_lshlrev_b32_e32 v36, 1, v58
	v_mul_lo_u16_e32 v30, 0x96, v59
	v_mul_u32_u24_e32 v31, 0xda75, v33
	v_lshlrev_b64 v[36:37], 3, v[36:37]
	v_sub_u16_e32 v60, v25, v30
	v_lshrrev_b32_e32 v31, 22, v31
	global_load_dwordx4 v[44:47], v[4:5], off offset:1160
	v_lshlrev_b32_e32 v30, 4, v60
	v_mul_lo_u16_e32 v43, 0x96, v31
	global_load_dwordx4 v[30:33], v30, s[8:9] offset:1160
	v_sub_u16_e32 v61, v23, v43
	v_add_co_u32_e64 v36, s[2:3], s8, v36
	v_lshlrev_b32_e32 v43, 4, v61
	global_load_dwordx4 v[50:53], v43, s[8:9] offset:1160
	v_addc_co_u32_e64 v37, s[2:3], v39, v37, s[2:3]
	global_load_dwordx4 v[54:57], v[36:37], off offset:1160
	s_waitcnt vmcnt(0) lgkmcnt(0)
	s_barrier
	v_cmp_lt_u32_e64 s[2:3], 14, v22
	v_mul_f32_e32 v39, v10, v45
	v_mul_f32_e32 v36, v2, v45
	;; [unrolled: 1-line block ×4, first 2 shown]
	v_fmac_f32_e32 v39, v2, v44
	v_fma_f32 v44, v10, v44, -v36
	v_fmac_f32_e32 v43, v9, v46
	v_mul_f32_e32 v36, v14, v31
	v_fma_f32 v46, v15, v46, -v37
	v_mul_f32_e32 v2, v8, v31
	v_mul_f32_e32 v37, v13, v33
	v_fmac_f32_e32 v36, v8, v30
	v_add_f32_e32 v8, v39, v43
	v_mul_f32_e32 v9, v7, v33
	v_mul_f32_e32 v33, v16, v53
	;; [unrolled: 1-line block ×4, first 2 shown]
	v_fma_f32 v45, v14, v30, -v2
	v_fmac_f32_e32 v37, v7, v32
	v_add_f32_e32 v2, v41, v39
	v_fmac_f32_e32 v41, -0.5, v8
	v_mul_f32_e32 v15, v35, v51
	v_mul_f32_e32 v10, v42, v51
	;; [unrolled: 1-line block ×3, first 2 shown]
	v_fma_f32 v48, v13, v32, -v9
	v_fma_f32 v14, v17, v52, -v33
	v_sub_f32_e32 v9, v44, v46
	v_fmac_f32_e32 v47, v3, v54
	v_fmac_f32_e32 v49, v6, v56
	v_add_f32_e32 v8, v36, v37
	v_mov_b32_e32 v17, v41
	v_mul_f32_e32 v51, v3, v55
	v_mul_f32_e32 v53, v6, v57
	v_fmac_f32_e32 v15, v42, v50
	v_fma_f32 v7, v35, v50, -v10
	v_add_f32_e32 v10, v2, v43
	v_add_f32_e32 v2, v38, v36
	;; [unrolled: 1-line block ×3, first 2 shown]
	v_fmac_f32_e32 v38, -0.5, v8
	v_fmac_f32_e32 v17, 0xbf5db3d7, v9
	v_fmac_f32_e32 v31, v16, v52
	v_fma_f32 v3, v11, v54, -v51
	v_fma_f32 v6, v12, v56, -v53
	v_sub_f32_e32 v11, v45, v48
	v_add_f32_e32 v12, v21, v15
	v_fmac_f32_e32 v41, 0x3f5db3d7, v9
	v_add_f32_e32 v30, v40, v47
	v_fmac_f32_e32 v40, -0.5, v32
	v_mov_b32_e32 v9, v38
	ds_write2_b32 v27, v10, v17 offset1:150
	ds_write_b32 v27, v41 offset:1200
	v_mov_b32_e32 v10, 0x708
	v_add_f32_e32 v13, v15, v31
	v_sub_f32_e32 v33, v3, v6
	v_add_f32_e32 v35, v2, v37
	v_add_f32_e32 v2, v12, v31
	v_fmac_f32_e32 v38, 0x3f5db3d7, v11
	v_mov_b32_e32 v12, v40
	v_fmac_f32_e32 v9, 0xbf5db3d7, v11
	v_cndmask_b32_e64 v10, 0, v10, s[2:3]
	v_lshlrev_b32_e32 v11, 2, v58
	v_fmac_f32_e32 v21, -0.5, v13
	v_add_f32_e32 v8, v30, v49
	v_fmac_f32_e32 v12, 0xbf5db3d7, v33
	v_add3_u32 v17, 0, v10, v11
	v_sub_f32_e32 v16, v7, v14
	v_fmac_f32_e32 v40, 0x3f5db3d7, v33
	v_mov_b32_e32 v30, v21
	ds_write2_b32 v17, v8, v12 offset1:150
	ds_write_b32 v17, v40 offset:1200
	v_mul_u32_u24_e32 v8, 0x708, v59
	v_lshlrev_b32_e32 v10, 2, v60
	v_fmac_f32_e32 v30, 0xbf5db3d7, v16
	v_fmac_f32_e32 v21, 0x3f5db3d7, v16
	v_add3_u32 v40, 0, v8, v10
	v_lshl_add_u32 v16, v61, 2, 0
	ds_write2_b32 v40, v35, v9 offset1:150
	ds_write_b32 v40, v38 offset:1200
	s_and_saveexec_b64 s[2:3], s[0:1]
	s_cbranch_execz .LBB0_27
; %bb.26:
	v_add_u32_e32 v8, 0xe00, v16
	ds_write2_b32 v8, v2, v30 offset0:4 offset1:154
	ds_write_b32 v16, v21 offset:4800
.LBB0_27:
	s_or_b64 exec, exec, s[2:3]
	v_add_u32_e32 v10, 0xb00, v27
	s_waitcnt lgkmcnt(0)
	s_barrier
	v_add_u32_e32 v8, 0x600, v27
	ds_read2_b32 v[12:13], v10 offset0:16 offset1:196
	v_add_u32_e32 v10, 0x1000, v27
	ds_read2_b32 v[8:9], v8 offset0:66 offset1:201
	ds_read2_b32 v[10:11], v10 offset0:11 offset1:146
	ds_read_b32 v32, v27
	ds_read_b32 v33, v29
	;; [unrolled: 1-line block ×3, first 2 shown]
	s_and_saveexec_b64 s[2:3], s[0:1]
	s_cbranch_execz .LBB0_29
; %bb.28:
	ds_read_b32 v2, v20
	ds_read_b32 v30, v27 offset:3420
	ds_read_b32 v21, v27 offset:5220
.LBB0_29:
	s_or_b64 exec, exec, s[2:3]
	v_add_f32_e32 v41, v44, v46
	v_add_f32_e32 v38, v34, v44
	v_fmac_f32_e32 v34, -0.5, v41
	v_sub_f32_e32 v39, v39, v43
	v_mov_b32_e32 v41, v34
	v_fmac_f32_e32 v41, 0x3f5db3d7, v39
	v_fmac_f32_e32 v34, 0xbf5db3d7, v39
	v_add_f32_e32 v39, v19, v3
	v_add_f32_e32 v3, v3, v6
	v_fmac_f32_e32 v19, -0.5, v3
	v_add_f32_e32 v39, v39, v6
	v_sub_f32_e32 v3, v47, v49
	v_mov_b32_e32 v6, v19
	v_fmac_f32_e32 v6, 0x3f5db3d7, v3
	v_fmac_f32_e32 v19, 0xbf5db3d7, v3
	v_add_f32_e32 v3, v18, v45
	v_add_f32_e32 v42, v3, v48
	;; [unrolled: 1-line block ×3, first 2 shown]
	v_fmac_f32_e32 v18, -0.5, v3
	v_sub_f32_e32 v3, v36, v37
	v_mov_b32_e32 v36, v18
	v_fmac_f32_e32 v36, 0x3f5db3d7, v3
	v_fmac_f32_e32 v18, 0xbf5db3d7, v3
	v_add_f32_e32 v3, v28, v7
	v_add_f32_e32 v7, v7, v14
	v_fmac_f32_e32 v28, -0.5, v7
	v_sub_f32_e32 v7, v15, v31
	v_mov_b32_e32 v31, v28
	v_add_f32_e32 v38, v38, v46
	v_add_f32_e32 v3, v3, v14
	v_fmac_f32_e32 v31, 0x3f5db3d7, v7
	v_fmac_f32_e32 v28, 0xbf5db3d7, v7
	s_waitcnt lgkmcnt(0)
	s_barrier
	ds_write2_b32 v27, v38, v41 offset1:150
	ds_write_b32 v27, v34 offset:1200
	ds_write2_b32 v17, v39, v6 offset1:150
	ds_write_b32 v17, v19 offset:1200
	;; [unrolled: 2-line block ×3, first 2 shown]
	s_and_saveexec_b64 s[2:3], s[0:1]
	s_cbranch_execz .LBB0_31
; %bb.30:
	v_add_u32_e32 v6, 0xe00, v16
	ds_write2_b32 v6, v3, v31 offset0:4 offset1:154
	ds_write_b32 v16, v28 offset:4800
.LBB0_31:
	s_or_b64 exec, exec, s[2:3]
	v_add_u32_e32 v6, 0x600, v27
	s_waitcnt lgkmcnt(0)
	s_barrier
	ds_read2_b32 v[14:15], v6 offset0:66 offset1:201
	v_add_u32_e32 v6, 0xb00, v27
	ds_read2_b32 v[18:19], v6 offset0:16 offset1:196
	v_add_u32_e32 v6, 0x1000, v27
	ds_read2_b32 v[16:17], v6 offset0:11 offset1:146
	ds_read_b32 v34, v27
	ds_read_b32 v29, v29
	;; [unrolled: 1-line block ×3, first 2 shown]
	s_and_saveexec_b64 s[2:3], s[0:1]
	s_cbranch_execz .LBB0_33
; %bb.32:
	ds_read_b32 v3, v20
	ds_read_b32 v31, v27 offset:3420
	ds_read_b32 v28, v27 offset:5220
.LBB0_33:
	s_or_b64 exec, exec, s[2:3]
	s_and_saveexec_b64 s[2:3], vcc
	s_cbranch_execz .LBB0_36
; %bb.34:
	v_lshlrev_b32_e32 v6, 1, v25
	v_mov_b32_e32 v7, 0
	v_lshlrev_b64 v[36:37], 3, v[6:7]
	v_mov_b32_e32 v20, s9
	v_add_co_u32_e32 v44, vcc, s8, v36
	v_addc_co_u32_e32 v45, vcc, v20, v37, vcc
	v_lshlrev_b32_e32 v6, 1, v24
	global_load_dwordx4 v[36:39], v[44:45], off offset:3560
	global_load_dwordx4 v[40:43], v[4:5], off offset:3560
	v_lshlrev_b64 v[4:5], 3, v[6:7]
	s_mov_b32 s4, 0x91a2b3c5
	v_add_co_u32_e32 v4, vcc, s8, v4
	v_addc_co_u32_e32 v5, vcc, v20, v5, vcc
	global_load_dwordx4 v[44:47], v[4:5], off offset:3560
	v_mad_u64_u32 v[4:5], s[2:3], s12, v22, 0
	v_add_co_u32_e32 v0, vcc, s14, v0
	v_mad_u64_u32 v[5:6], s[2:3], s13, v22, v[5:6]
	s_movk_i32 s5, 0x384
	v_lshlrev_b64 v[4:5], 3, v[4:5]
	s_waitcnt vmcnt(2) lgkmcnt(4)
	v_mul_f32_e32 v24, v18, v37
	s_waitcnt lgkmcnt(3)
	v_mul_f32_e32 v25, v17, v39
	v_mul_f32_e32 v6, v12, v37
	;; [unrolled: 1-line block ×3, first 2 shown]
	s_waitcnt vmcnt(1)
	v_mul_f32_e32 v27, v8, v41
	v_mul_f32_e32 v37, v13, v43
	v_fmac_f32_e32 v24, v12, v36
	v_fmac_f32_e32 v25, v11, v38
	s_waitcnt vmcnt(0)
	v_mul_f32_e32 v11, v9, v45
	v_mul_f32_e32 v12, v10, v47
	;; [unrolled: 1-line block ×4, first 2 shown]
	v_fma_f32 v6, v18, v36, -v6
	v_fma_f32 v17, v17, v38, -v20
	v_mul_f32_e32 v18, v15, v45
	v_mul_f32_e32 v20, v16, v47
	v_fma_f32 v14, v14, v40, -v27
	v_fma_f32 v19, v19, v42, -v37
	v_sub_f32_e32 v36, v24, v25
	v_add_f32_e32 v27, v24, v25
	v_add_f32_e32 v24, v35, v24
	v_fma_f32 v15, v15, v44, -v11
	v_fma_f32 v37, v16, v46, -v12
	v_fmac_f32_e32 v39, v8, v40
	v_add_f32_e32 v8, v6, v17
	v_fmac_f32_e32 v18, v9, v44
	v_fmac_f32_e32 v20, v10, v46
	s_waitcnt lgkmcnt(2)
	v_add_f32_e32 v16, v34, v14
	v_add_f32_e32 v10, v24, v25
	;; [unrolled: 1-line block ×3, first 2 shown]
	v_fmac_f32_e32 v41, v13, v42
	s_waitcnt lgkmcnt(0)
	v_add_f32_e32 v13, v26, v6
	v_add_f32_e32 v12, v14, v19
	v_sub_f32_e32 v14, v14, v19
	v_fma_f32 v9, -0.5, v8, v26
	v_fma_f32 v8, -0.5, v27, v35
	v_add_f32_e32 v25, v29, v15
	v_sub_f32_e32 v42, v15, v37
	v_add_f32_e32 v27, v33, v18
	v_add_f32_e32 v15, v16, v19
	v_fma_f32 v19, -0.5, v24, v29
	v_sub_f32_e32 v6, v6, v17
	v_add_f32_e32 v11, v13, v17
	v_sub_f32_e32 v35, v18, v20
	v_add_f32_e32 v26, v18, v20
	v_fma_f32 v13, -0.5, v12, v34
	v_mov_b32_e32 v17, v9
	v_add_f32_e32 v24, v27, v20
	v_mov_b32_e32 v34, v19
	v_add_u32_e32 v20, 0x1c2, v22
	v_add_f32_e32 v40, v39, v41
	v_fmac_f32_e32 v9, 0x3f5db3d7, v36
	v_fmac_f32_e32 v17, 0xbf5db3d7, v36
	;; [unrolled: 1-line block ×4, first 2 shown]
	v_mad_u64_u32 v[35:36], s[2:3], s12, v20, 0
	v_fma_f32 v12, -0.5, v40, v32
	v_mov_b32_e32 v16, v8
	v_fmac_f32_e32 v8, 0xbf5db3d7, v6
	v_fma_f32 v18, -0.5, v26, v33
	v_mov_b32_e32 v26, v12
	v_fmac_f32_e32 v16, 0x3f5db3d7, v6
	v_add_f32_e32 v6, v32, v39
	v_fmac_f32_e32 v26, 0x3f5db3d7, v14
	v_fmac_f32_e32 v12, 0xbf5db3d7, v14
	v_add_f32_e32 v14, v6, v41
	v_mov_b32_e32 v6, s15
	v_addc_co_u32_e32 v1, vcc, v6, v1, vcc
	v_mov_b32_e32 v6, v36
	v_add_f32_e32 v25, v25, v37
	v_mad_u64_u32 v[36:37], s[2:3], s13, v20, v[6:7]
	v_add_co_u32_e32 v4, vcc, v0, v4
	v_addc_co_u32_e32 v5, vcc, v1, v5, vcc
	v_add_u32_e32 v6, 0x384, v22
	global_store_dwordx2 v[4:5], v[14:15], off
	v_lshlrev_b64 v[4:5], 3, v[35:36]
	v_mad_u64_u32 v[14:15], s[2:3], s12, v6, 0
	v_sub_f32_e32 v38, v39, v41
	v_add_co_u32_e32 v4, vcc, v0, v4
	v_mov_b32_e32 v27, v13
	v_fmac_f32_e32 v13, 0x3f5db3d7, v38
	v_addc_co_u32_e32 v5, vcc, v1, v5, vcc
	global_store_dwordx2 v[4:5], v[12:13], off
	v_mov_b32_e32 v4, v15
	v_mad_u64_u32 v[4:5], s[2:3], s13, v6, v[4:5]
	v_add_u32_e32 v6, 0x87, v22
	v_mul_hi_u32 v12, v6, s4
	v_mov_b32_e32 v15, v4
	v_lshlrev_b64 v[4:5], 3, v[14:15]
	v_fmac_f32_e32 v27, 0xbf5db3d7, v38
	v_lshrrev_b32_e32 v12, 8, v12
	v_mad_u32_u24 v20, v12, s5, v6
	v_mad_u64_u32 v[12:13], s[2:3], s12, v20, 0
	v_add_u32_e32 v29, 0x1c2, v20
	v_add_co_u32_e32 v4, vcc, v0, v4
	v_mov_b32_e32 v6, v13
	v_mad_u64_u32 v[13:14], s[2:3], s13, v20, v[6:7]
	v_mad_u64_u32 v[14:15], s[2:3], s12, v29, 0
	v_addc_co_u32_e32 v5, vcc, v1, v5, vcc
	v_mov_b32_e32 v6, v15
	global_store_dwordx2 v[4:5], v[26:27], off
	v_lshlrev_b64 v[4:5], 3, v[12:13]
	v_mad_u64_u32 v[12:13], s[2:3], s13, v29, v[6:7]
	v_add_co_u32_e32 v4, vcc, v0, v4
	v_addc_co_u32_e32 v5, vcc, v1, v5, vcc
	v_mov_b32_e32 v15, v12
	global_store_dwordx2 v[4:5], v[24:25], off
	v_lshlrev_b64 v[4:5], 3, v[14:15]
	v_add_u32_e32 v14, 0x384, v20
	v_mad_u64_u32 v[12:13], s[2:3], s12, v14, 0
	v_add_u32_e32 v15, 0x10e, v22
	v_mul_hi_u32 v20, v15, s4
	v_mov_b32_e32 v6, v13
	v_mad_u64_u32 v[13:14], s[2:3], s13, v14, v[6:7]
	v_lshrrev_b32_e32 v6, 8, v20
	v_mad_u32_u24 v20, v6, s5, v15
	v_mad_u64_u32 v[14:15], s[2:3], s12, v20, 0
	v_add_co_u32_e32 v4, vcc, v0, v4
	v_mov_b32_e32 v33, v18
	v_fmac_f32_e32 v18, 0xbf5db3d7, v42
	v_addc_co_u32_e32 v5, vcc, v1, v5, vcc
	v_mov_b32_e32 v6, v15
	global_store_dwordx2 v[4:5], v[18:19], off
	v_lshlrev_b64 v[4:5], 3, v[12:13]
	v_mad_u64_u32 v[12:13], s[2:3], s13, v20, v[6:7]
	v_add_co_u32_e32 v4, vcc, v0, v4
	v_fmac_f32_e32 v33, 0x3f5db3d7, v42
	v_addc_co_u32_e32 v5, vcc, v1, v5, vcc
	v_mov_b32_e32 v15, v12
	global_store_dwordx2 v[4:5], v[33:34], off
	v_lshlrev_b64 v[4:5], 3, v[14:15]
	v_add_u32_e32 v14, 0x1c2, v20
	v_mad_u64_u32 v[12:13], s[2:3], s12, v14, 0
	v_add_u32_e32 v18, 0x384, v20
	v_add_co_u32_e32 v4, vcc, v0, v4
	v_mov_b32_e32 v6, v13
	v_mad_u64_u32 v[13:14], s[2:3], s13, v14, v[6:7]
	v_mad_u64_u32 v[14:15], s[2:3], s12, v18, 0
	v_addc_co_u32_e32 v5, vcc, v1, v5, vcc
	v_mov_b32_e32 v6, v15
	global_store_dwordx2 v[4:5], v[10:11], off
	v_mad_u64_u32 v[10:11], s[2:3], s13, v18, v[6:7]
	v_lshlrev_b64 v[4:5], 3, v[12:13]
	v_add_co_u32_e32 v4, vcc, v0, v4
	v_addc_co_u32_e32 v5, vcc, v1, v5, vcc
	v_mov_b32_e32 v15, v10
	global_store_dwordx2 v[4:5], v[8:9], off
	v_lshlrev_b64 v[4:5], 3, v[14:15]
	v_add_co_u32_e32 v4, vcc, v0, v4
	v_addc_co_u32_e32 v5, vcc, v1, v5, vcc
	global_store_dwordx2 v[4:5], v[16:17], off
	s_and_b64 exec, exec, s[0:1]
	s_cbranch_execz .LBB0_36
; %bb.35:
	v_subrev_u32_e32 v4, 45, v22
	v_cndmask_b32_e64 v4, v4, v23, s[0:1]
	v_lshlrev_b32_e32 v6, 1, v4
	v_lshlrev_b64 v[4:5], 3, v[6:7]
	v_mov_b32_e32 v6, s9
	v_add_co_u32_e32 v4, vcc, s8, v4
	v_addc_co_u32_e32 v5, vcc, v6, v5, vcc
	global_load_dwordx4 v[4:7], v[4:5], off offset:3560
	v_add_u32_e32 v14, 0x195, v22
	v_add_u32_e32 v16, 0x357, v22
	v_mad_u64_u32 v[8:9], s[0:1], s12, v14, 0
	v_mad_u64_u32 v[10:11], s[0:1], s12, v16, 0
	v_add_u32_e32 v17, 0x519, v22
	v_mad_u64_u32 v[12:13], s[0:1], s12, v17, 0
	v_mad_u64_u32 v[14:15], s[0:1], s13, v14, v[9:10]
	;; [unrolled: 1-line block ×4, first 2 shown]
	v_mov_b32_e32 v9, v14
	v_lshlrev_b64 v[8:9], 3, v[8:9]
	v_mov_b32_e32 v11, v15
	v_lshlrev_b64 v[10:11], 3, v[10:11]
	v_add_co_u32_e32 v8, vcc, v0, v8
	v_mov_b32_e32 v13, v16
	v_addc_co_u32_e32 v9, vcc, v1, v9, vcc
	v_lshlrev_b64 v[12:13], 3, v[12:13]
	v_add_co_u32_e32 v10, vcc, v0, v10
	v_addc_co_u32_e32 v11, vcc, v1, v11, vcc
	v_add_co_u32_e32 v0, vcc, v0, v12
	v_addc_co_u32_e32 v1, vcc, v1, v13, vcc
	s_waitcnt vmcnt(0)
	v_mul_f32_e32 v12, v31, v5
	v_mul_f32_e32 v5, v30, v5
	;; [unrolled: 1-line block ×4, first 2 shown]
	v_fmac_f32_e32 v12, v30, v4
	v_fma_f32 v4, v31, v4, -v5
	v_fmac_f32_e32 v13, v21, v6
	v_fma_f32 v5, v28, v6, -v7
	v_add_f32_e32 v7, v12, v13
	v_add_f32_e32 v16, v4, v5
	;; [unrolled: 1-line block ×4, first 2 shown]
	v_fmac_f32_e32 v2, -0.5, v7
	v_fmac_f32_e32 v3, -0.5, v16
	v_sub_f32_e32 v14, v4, v5
	v_sub_f32_e32 v12, v12, v13
	v_add_f32_e32 v4, v6, v13
	v_mov_b32_e32 v6, v2
	v_mov_b32_e32 v7, v3
	v_add_f32_e32 v5, v15, v5
	v_fmac_f32_e32 v6, 0xbf5db3d7, v14
	v_fmac_f32_e32 v7, 0x3f5db3d7, v12
	;; [unrolled: 1-line block ×4, first 2 shown]
	global_store_dwordx2 v[8:9], v[4:5], off
	global_store_dwordx2 v[10:11], v[6:7], off
	;; [unrolled: 1-line block ×3, first 2 shown]
.LBB0_36:
	s_endpgm
	.section	.rodata,"a",@progbits
	.p2align	6, 0x0
	.amdhsa_kernel fft_rtc_back_len1350_factors_5_10_3_3_3_wgs_135_tpt_135_halfLds_sp_ip_CI_sbrr_dirReg
		.amdhsa_group_segment_fixed_size 0
		.amdhsa_private_segment_fixed_size 0
		.amdhsa_kernarg_size 88
		.amdhsa_user_sgpr_count 6
		.amdhsa_user_sgpr_private_segment_buffer 1
		.amdhsa_user_sgpr_dispatch_ptr 0
		.amdhsa_user_sgpr_queue_ptr 0
		.amdhsa_user_sgpr_kernarg_segment_ptr 1
		.amdhsa_user_sgpr_dispatch_id 0
		.amdhsa_user_sgpr_flat_scratch_init 0
		.amdhsa_user_sgpr_private_segment_size 0
		.amdhsa_uses_dynamic_stack 0
		.amdhsa_system_sgpr_private_segment_wavefront_offset 0
		.amdhsa_system_sgpr_workgroup_id_x 1
		.amdhsa_system_sgpr_workgroup_id_y 0
		.amdhsa_system_sgpr_workgroup_id_z 0
		.amdhsa_system_sgpr_workgroup_info 0
		.amdhsa_system_vgpr_workitem_id 0
		.amdhsa_next_free_vgpr 62
		.amdhsa_next_free_sgpr 24
		.amdhsa_reserve_vcc 1
		.amdhsa_reserve_flat_scratch 0
		.amdhsa_float_round_mode_32 0
		.amdhsa_float_round_mode_16_64 0
		.amdhsa_float_denorm_mode_32 3
		.amdhsa_float_denorm_mode_16_64 3
		.amdhsa_dx10_clamp 1
		.amdhsa_ieee_mode 1
		.amdhsa_fp16_overflow 0
		.amdhsa_exception_fp_ieee_invalid_op 0
		.amdhsa_exception_fp_denorm_src 0
		.amdhsa_exception_fp_ieee_div_zero 0
		.amdhsa_exception_fp_ieee_overflow 0
		.amdhsa_exception_fp_ieee_underflow 0
		.amdhsa_exception_fp_ieee_inexact 0
		.amdhsa_exception_int_div_zero 0
	.end_amdhsa_kernel
	.text
.Lfunc_end0:
	.size	fft_rtc_back_len1350_factors_5_10_3_3_3_wgs_135_tpt_135_halfLds_sp_ip_CI_sbrr_dirReg, .Lfunc_end0-fft_rtc_back_len1350_factors_5_10_3_3_3_wgs_135_tpt_135_halfLds_sp_ip_CI_sbrr_dirReg
                                        ; -- End function
	.section	.AMDGPU.csdata,"",@progbits
; Kernel info:
; codeLenInByte = 8032
; NumSgprs: 28
; NumVgprs: 62
; ScratchSize: 0
; MemoryBound: 0
; FloatMode: 240
; IeeeMode: 1
; LDSByteSize: 0 bytes/workgroup (compile time only)
; SGPRBlocks: 3
; VGPRBlocks: 15
; NumSGPRsForWavesPerEU: 28
; NumVGPRsForWavesPerEU: 62
; Occupancy: 4
; WaveLimiterHint : 1
; COMPUTE_PGM_RSRC2:SCRATCH_EN: 0
; COMPUTE_PGM_RSRC2:USER_SGPR: 6
; COMPUTE_PGM_RSRC2:TRAP_HANDLER: 0
; COMPUTE_PGM_RSRC2:TGID_X_EN: 1
; COMPUTE_PGM_RSRC2:TGID_Y_EN: 0
; COMPUTE_PGM_RSRC2:TGID_Z_EN: 0
; COMPUTE_PGM_RSRC2:TIDIG_COMP_CNT: 0
	.type	__hip_cuid_aac6d763fbf12d70,@object ; @__hip_cuid_aac6d763fbf12d70
	.section	.bss,"aw",@nobits
	.globl	__hip_cuid_aac6d763fbf12d70
__hip_cuid_aac6d763fbf12d70:
	.byte	0                               ; 0x0
	.size	__hip_cuid_aac6d763fbf12d70, 1

	.ident	"AMD clang version 19.0.0git (https://github.com/RadeonOpenCompute/llvm-project roc-6.4.0 25133 c7fe45cf4b819c5991fe208aaa96edf142730f1d)"
	.section	".note.GNU-stack","",@progbits
	.addrsig
	.addrsig_sym __hip_cuid_aac6d763fbf12d70
	.amdgpu_metadata
---
amdhsa.kernels:
  - .args:
      - .actual_access:  read_only
        .address_space:  global
        .offset:         0
        .size:           8
        .value_kind:     global_buffer
      - .offset:         8
        .size:           8
        .value_kind:     by_value
      - .actual_access:  read_only
        .address_space:  global
        .offset:         16
        .size:           8
        .value_kind:     global_buffer
      - .actual_access:  read_only
        .address_space:  global
        .offset:         24
        .size:           8
        .value_kind:     global_buffer
      - .offset:         32
        .size:           8
        .value_kind:     by_value
      - .actual_access:  read_only
        .address_space:  global
        .offset:         40
        .size:           8
        .value_kind:     global_buffer
      - .actual_access:  read_only
        .address_space:  global
        .offset:         48
        .size:           8
        .value_kind:     global_buffer
      - .offset:         56
        .size:           4
        .value_kind:     by_value
      - .actual_access:  read_only
        .address_space:  global
        .offset:         64
        .size:           8
        .value_kind:     global_buffer
      - .actual_access:  read_only
        .address_space:  global
        .offset:         72
        .size:           8
        .value_kind:     global_buffer
      - .address_space:  global
        .offset:         80
        .size:           8
        .value_kind:     global_buffer
    .group_segment_fixed_size: 0
    .kernarg_segment_align: 8
    .kernarg_segment_size: 88
    .language:       OpenCL C
    .language_version:
      - 2
      - 0
    .max_flat_workgroup_size: 135
    .name:           fft_rtc_back_len1350_factors_5_10_3_3_3_wgs_135_tpt_135_halfLds_sp_ip_CI_sbrr_dirReg
    .private_segment_fixed_size: 0
    .sgpr_count:     28
    .sgpr_spill_count: 0
    .symbol:         fft_rtc_back_len1350_factors_5_10_3_3_3_wgs_135_tpt_135_halfLds_sp_ip_CI_sbrr_dirReg.kd
    .uniform_work_group_size: 1
    .uses_dynamic_stack: false
    .vgpr_count:     62
    .vgpr_spill_count: 0
    .wavefront_size: 64
amdhsa.target:   amdgcn-amd-amdhsa--gfx906
amdhsa.version:
  - 1
  - 2
...

	.end_amdgpu_metadata
